;; amdgpu-corpus repo=ROCm/rocFFT kind=compiled arch=gfx906 opt=O3
	.text
	.amdgcn_target "amdgcn-amd-amdhsa--gfx906"
	.amdhsa_code_object_version 6
	.protected	fft_rtc_back_len1764_factors_2_2_3_3_7_7_wgs_126_tpt_126_halfLds_sp_ip_CI_sbrr_dirReg ; -- Begin function fft_rtc_back_len1764_factors_2_2_3_3_7_7_wgs_126_tpt_126_halfLds_sp_ip_CI_sbrr_dirReg
	.globl	fft_rtc_back_len1764_factors_2_2_3_3_7_7_wgs_126_tpt_126_halfLds_sp_ip_CI_sbrr_dirReg
	.p2align	8
	.type	fft_rtc_back_len1764_factors_2_2_3_3_7_7_wgs_126_tpt_126_halfLds_sp_ip_CI_sbrr_dirReg,@function
fft_rtc_back_len1764_factors_2_2_3_3_7_7_wgs_126_tpt_126_halfLds_sp_ip_CI_sbrr_dirReg: ; @fft_rtc_back_len1764_factors_2_2_3_3_7_7_wgs_126_tpt_126_halfLds_sp_ip_CI_sbrr_dirReg
; %bb.0:
	s_load_dwordx2 s[14:15], s[4:5], 0x18
	s_load_dwordx4 s[8:11], s[4:5], 0x0
	s_load_dwordx2 s[12:13], s[4:5], 0x50
	v_mul_u32_u24_e32 v1, 0x209, v0
	v_add_u32_sdwa v5, s6, v1 dst_sel:DWORD dst_unused:UNUSED_PAD src0_sel:DWORD src1_sel:WORD_1
	s_waitcnt lgkmcnt(0)
	s_load_dwordx2 s[2:3], s[14:15], 0x0
	v_cmp_lt_u64_e64 s[0:1], s[10:11], 2
	v_mov_b32_e32 v3, 0
	v_mov_b32_e32 v1, 0
	;; [unrolled: 1-line block ×3, first 2 shown]
	s_and_b64 vcc, exec, s[0:1]
	v_mov_b32_e32 v2, 0
	s_cbranch_vccnz .LBB0_8
; %bb.1:
	s_load_dwordx2 s[0:1], s[4:5], 0x10
	s_add_u32 s6, s14, 8
	s_addc_u32 s7, s15, 0
	v_mov_b32_e32 v1, 0
	v_mov_b32_e32 v2, 0
	s_waitcnt lgkmcnt(0)
	s_add_u32 s16, s0, 8
	s_addc_u32 s17, s1, 0
	s_mov_b64 s[18:19], 1
.LBB0_2:                                ; =>This Inner Loop Header: Depth=1
	s_load_dwordx2 s[20:21], s[16:17], 0x0
                                        ; implicit-def: $vgpr7_vgpr8
	s_waitcnt lgkmcnt(0)
	v_or_b32_e32 v4, s21, v6
	v_cmp_ne_u64_e32 vcc, 0, v[3:4]
	s_and_saveexec_b64 s[0:1], vcc
	s_xor_b64 s[22:23], exec, s[0:1]
	s_cbranch_execz .LBB0_4
; %bb.3:                                ;   in Loop: Header=BB0_2 Depth=1
	v_cvt_f32_u32_e32 v4, s20
	v_cvt_f32_u32_e32 v7, s21
	s_sub_u32 s0, 0, s20
	s_subb_u32 s1, 0, s21
	v_mac_f32_e32 v4, 0x4f800000, v7
	v_rcp_f32_e32 v4, v4
	v_mul_f32_e32 v4, 0x5f7ffffc, v4
	v_mul_f32_e32 v7, 0x2f800000, v4
	v_trunc_f32_e32 v7, v7
	v_mac_f32_e32 v4, 0xcf800000, v7
	v_cvt_u32_f32_e32 v7, v7
	v_cvt_u32_f32_e32 v4, v4
	v_mul_lo_u32 v8, s0, v7
	v_mul_hi_u32 v9, s0, v4
	v_mul_lo_u32 v11, s1, v4
	v_mul_lo_u32 v10, s0, v4
	v_add_u32_e32 v8, v9, v8
	v_add_u32_e32 v8, v8, v11
	v_mul_hi_u32 v9, v4, v10
	v_mul_lo_u32 v11, v4, v8
	v_mul_hi_u32 v13, v4, v8
	v_mul_hi_u32 v12, v7, v10
	v_mul_lo_u32 v10, v7, v10
	v_mul_hi_u32 v14, v7, v8
	v_add_co_u32_e32 v9, vcc, v9, v11
	v_addc_co_u32_e32 v11, vcc, 0, v13, vcc
	v_mul_lo_u32 v8, v7, v8
	v_add_co_u32_e32 v9, vcc, v9, v10
	v_addc_co_u32_e32 v9, vcc, v11, v12, vcc
	v_addc_co_u32_e32 v10, vcc, 0, v14, vcc
	v_add_co_u32_e32 v8, vcc, v9, v8
	v_addc_co_u32_e32 v9, vcc, 0, v10, vcc
	v_add_co_u32_e32 v4, vcc, v4, v8
	v_addc_co_u32_e32 v7, vcc, v7, v9, vcc
	v_mul_lo_u32 v8, s0, v7
	v_mul_hi_u32 v9, s0, v4
	v_mul_lo_u32 v10, s1, v4
	v_mul_lo_u32 v11, s0, v4
	v_add_u32_e32 v8, v9, v8
	v_add_u32_e32 v8, v8, v10
	v_mul_lo_u32 v12, v4, v8
	v_mul_hi_u32 v13, v4, v11
	v_mul_hi_u32 v14, v4, v8
	;; [unrolled: 1-line block ×3, first 2 shown]
	v_mul_lo_u32 v11, v7, v11
	v_mul_hi_u32 v9, v7, v8
	v_add_co_u32_e32 v12, vcc, v13, v12
	v_addc_co_u32_e32 v13, vcc, 0, v14, vcc
	v_mul_lo_u32 v8, v7, v8
	v_add_co_u32_e32 v11, vcc, v12, v11
	v_addc_co_u32_e32 v10, vcc, v13, v10, vcc
	v_addc_co_u32_e32 v9, vcc, 0, v9, vcc
	v_add_co_u32_e32 v8, vcc, v10, v8
	v_addc_co_u32_e32 v9, vcc, 0, v9, vcc
	v_add_co_u32_e32 v4, vcc, v4, v8
	v_addc_co_u32_e32 v9, vcc, v7, v9, vcc
	v_mad_u64_u32 v[7:8], s[0:1], v5, v9, 0
	v_mul_hi_u32 v10, v5, v4
	v_add_co_u32_e32 v11, vcc, v10, v7
	v_addc_co_u32_e32 v12, vcc, 0, v8, vcc
	v_mad_u64_u32 v[7:8], s[0:1], v6, v4, 0
	v_mad_u64_u32 v[9:10], s[0:1], v6, v9, 0
	v_add_co_u32_e32 v4, vcc, v11, v7
	v_addc_co_u32_e32 v4, vcc, v12, v8, vcc
	v_addc_co_u32_e32 v7, vcc, 0, v10, vcc
	v_add_co_u32_e32 v4, vcc, v4, v9
	v_addc_co_u32_e32 v9, vcc, 0, v7, vcc
	v_mul_lo_u32 v10, s21, v4
	v_mul_lo_u32 v11, s20, v9
	v_mad_u64_u32 v[7:8], s[0:1], s20, v4, 0
	v_add3_u32 v8, v8, v11, v10
	v_sub_u32_e32 v10, v6, v8
	v_mov_b32_e32 v11, s21
	v_sub_co_u32_e32 v7, vcc, v5, v7
	v_subb_co_u32_e64 v10, s[0:1], v10, v11, vcc
	v_subrev_co_u32_e64 v11, s[0:1], s20, v7
	v_subbrev_co_u32_e64 v10, s[0:1], 0, v10, s[0:1]
	v_cmp_le_u32_e64 s[0:1], s21, v10
	v_cndmask_b32_e64 v12, 0, -1, s[0:1]
	v_cmp_le_u32_e64 s[0:1], s20, v11
	v_cndmask_b32_e64 v11, 0, -1, s[0:1]
	v_cmp_eq_u32_e64 s[0:1], s21, v10
	v_cndmask_b32_e64 v10, v12, v11, s[0:1]
	v_add_co_u32_e64 v11, s[0:1], 2, v4
	v_addc_co_u32_e64 v12, s[0:1], 0, v9, s[0:1]
	v_add_co_u32_e64 v13, s[0:1], 1, v4
	v_addc_co_u32_e64 v14, s[0:1], 0, v9, s[0:1]
	v_subb_co_u32_e32 v8, vcc, v6, v8, vcc
	v_cmp_ne_u32_e64 s[0:1], 0, v10
	v_cmp_le_u32_e32 vcc, s21, v8
	v_cndmask_b32_e64 v10, v14, v12, s[0:1]
	v_cndmask_b32_e64 v12, 0, -1, vcc
	v_cmp_le_u32_e32 vcc, s20, v7
	v_cndmask_b32_e64 v7, 0, -1, vcc
	v_cmp_eq_u32_e32 vcc, s21, v8
	v_cndmask_b32_e32 v7, v12, v7, vcc
	v_cmp_ne_u32_e32 vcc, 0, v7
	v_cndmask_b32_e64 v7, v13, v11, s[0:1]
	v_cndmask_b32_e32 v8, v9, v10, vcc
	v_cndmask_b32_e32 v7, v4, v7, vcc
.LBB0_4:                                ;   in Loop: Header=BB0_2 Depth=1
	s_andn2_saveexec_b64 s[0:1], s[22:23]
	s_cbranch_execz .LBB0_6
; %bb.5:                                ;   in Loop: Header=BB0_2 Depth=1
	v_cvt_f32_u32_e32 v4, s20
	s_sub_i32 s22, 0, s20
	v_rcp_iflag_f32_e32 v4, v4
	v_mul_f32_e32 v4, 0x4f7ffffe, v4
	v_cvt_u32_f32_e32 v4, v4
	v_mul_lo_u32 v7, s22, v4
	v_mul_hi_u32 v7, v4, v7
	v_add_u32_e32 v4, v4, v7
	v_mul_hi_u32 v4, v5, v4
	v_mul_lo_u32 v7, v4, s20
	v_add_u32_e32 v8, 1, v4
	v_sub_u32_e32 v7, v5, v7
	v_subrev_u32_e32 v9, s20, v7
	v_cmp_le_u32_e32 vcc, s20, v7
	v_cndmask_b32_e32 v7, v7, v9, vcc
	v_cndmask_b32_e32 v4, v4, v8, vcc
	v_add_u32_e32 v8, 1, v4
	v_cmp_le_u32_e32 vcc, s20, v7
	v_cndmask_b32_e32 v7, v4, v8, vcc
	v_mov_b32_e32 v8, v3
.LBB0_6:                                ;   in Loop: Header=BB0_2 Depth=1
	s_or_b64 exec, exec, s[0:1]
	v_mul_lo_u32 v4, v8, s20
	v_mul_lo_u32 v11, v7, s21
	v_mad_u64_u32 v[9:10], s[0:1], v7, s20, 0
	s_load_dwordx2 s[0:1], s[6:7], 0x0
	s_add_u32 s18, s18, 1
	v_add3_u32 v4, v10, v11, v4
	v_sub_co_u32_e32 v5, vcc, v5, v9
	v_subb_co_u32_e32 v4, vcc, v6, v4, vcc
	s_waitcnt lgkmcnt(0)
	v_mul_lo_u32 v4, s0, v4
	v_mul_lo_u32 v6, s1, v5
	v_mad_u64_u32 v[1:2], s[0:1], s0, v5, v[1:2]
	s_addc_u32 s19, s19, 0
	s_add_u32 s6, s6, 8
	v_add3_u32 v2, v6, v2, v4
	v_mov_b32_e32 v4, s10
	v_mov_b32_e32 v5, s11
	s_addc_u32 s7, s7, 0
	v_cmp_ge_u64_e32 vcc, s[18:19], v[4:5]
	s_add_u32 s16, s16, 8
	s_addc_u32 s17, s17, 0
	s_cbranch_vccnz .LBB0_9
; %bb.7:                                ;   in Loop: Header=BB0_2 Depth=1
	v_mov_b32_e32 v5, v7
	v_mov_b32_e32 v6, v8
	s_branch .LBB0_2
.LBB0_8:
	v_mov_b32_e32 v8, v6
	v_mov_b32_e32 v7, v5
.LBB0_9:
	s_lshl_b64 s[0:1], s[10:11], 3
	s_add_u32 s0, s14, s0
	s_addc_u32 s1, s15, s1
	s_load_dwordx2 s[6:7], s[0:1], 0x0
	s_load_dwordx2 s[10:11], s[4:5], 0x20
                                        ; implicit-def: $vgpr33
                                        ; implicit-def: $vgpr34
                                        ; implicit-def: $vgpr35
                                        ; implicit-def: $vgpr36
                                        ; implicit-def: $vgpr37
                                        ; implicit-def: $vgpr38
	s_waitcnt lgkmcnt(0)
	v_mad_u64_u32 v[1:2], s[0:1], s6, v7, v[1:2]
	s_mov_b32 s0, 0x2082083
	v_mul_lo_u32 v3, s6, v8
	v_mul_lo_u32 v4, s7, v7
	v_mul_hi_u32 v5, v0, s0
	v_cmp_gt_u64_e32 vcc, s[10:11], v[7:8]
	v_cmp_le_u64_e64 s[0:1], s[10:11], v[7:8]
	v_add3_u32 v2, v4, v2, v3
	v_mul_u32_u24_e32 v3, 0x7e, v5
	v_sub_u32_e32 v32, v0, v3
                                        ; implicit-def: $sgpr6_sgpr7
	s_and_saveexec_b64 s[4:5], s[0:1]
	s_xor_b64 s[0:1], exec, s[4:5]
; %bb.10:
	v_add_u32_e32 v33, 0x7e, v32
	v_add_u32_e32 v34, 0xfc, v32
	;; [unrolled: 1-line block ×6, first 2 shown]
	s_mov_b64 s[6:7], 0
; %bb.11:
	s_or_saveexec_b64 s[4:5], s[0:1]
	v_mov_b32_e32 v4, s6
	v_lshlrev_b64 v[0:1], 3, v[1:2]
	v_mov_b32_e32 v21, s7
	v_mov_b32_e32 v23, s7
	;; [unrolled: 1-line block ×13, first 2 shown]
                                        ; implicit-def: $vgpr31
                                        ; implicit-def: $vgpr8
                                        ; implicit-def: $vgpr11
                                        ; implicit-def: $vgpr15
                                        ; implicit-def: $vgpr3
                                        ; implicit-def: $vgpr17
                                        ; implicit-def: $vgpr19
	s_xor_b64 exec, exec, s[4:5]
	s_cbranch_execz .LBB0_13
; %bb.12:
	v_mad_u64_u32 v[2:3], s[0:1], s2, v32, 0
	v_add_u32_e32 v7, 0x372, v32
	v_mov_b32_e32 v6, s13
	v_mad_u64_u32 v[3:4], s[0:1], s3, v32, v[3:4]
	v_mad_u64_u32 v[4:5], s[0:1], s2, v7, 0
	v_add_co_u32_e64 v10, s[0:1], s12, v0
	v_addc_co_u32_e64 v11, s[0:1], v6, v1, s[0:1]
	v_mad_u64_u32 v[5:6], s[0:1], s3, v7, v[5:6]
	v_add_u32_e32 v33, 0x7e, v32
	v_mad_u64_u32 v[6:7], s[0:1], s2, v33, 0
	v_lshlrev_b64 v[2:3], 3, v[2:3]
	v_add_u32_e32 v34, 0xfc, v32
	v_add_co_u32_e64 v39, s[0:1], v10, v2
	v_addc_co_u32_e64 v40, s[0:1], v11, v3, s[0:1]
	v_lshlrev_b64 v[2:3], 3, v[4:5]
	v_mov_b32_e32 v4, v7
	v_mad_u64_u32 v[4:5], s[0:1], s3, v33, v[4:5]
	v_add_u32_e32 v5, 0x3f0, v32
	v_mad_u64_u32 v[8:9], s[0:1], s2, v5, 0
	v_add_co_u32_e64 v41, s[0:1], v10, v2
	v_mov_b32_e32 v7, v4
	v_mov_b32_e32 v4, v9
	v_addc_co_u32_e64 v42, s[0:1], v11, v3, s[0:1]
	v_mad_u64_u32 v[4:5], s[0:1], s3, v5, v[4:5]
	v_lshlrev_b64 v[2:3], 3, v[6:7]
	v_mad_u64_u32 v[5:6], s[0:1], s2, v34, 0
	v_add_co_u32_e64 v43, s[0:1], v10, v2
	v_mov_b32_e32 v9, v4
	v_mov_b32_e32 v4, v6
	v_addc_co_u32_e64 v44, s[0:1], v11, v3, s[0:1]
	v_lshlrev_b64 v[2:3], 3, v[8:9]
	v_mad_u64_u32 v[6:7], s[0:1], s3, v34, v[4:5]
	v_add_u32_e32 v9, 0x46e, v32
	v_mad_u64_u32 v[7:8], s[0:1], s2, v9, 0
	v_add_co_u32_e64 v45, s[0:1], v10, v2
	v_mov_b32_e32 v4, v8
	v_addc_co_u32_e64 v46, s[0:1], v11, v3, s[0:1]
	v_lshlrev_b64 v[2:3], 3, v[5:6]
	v_mad_u64_u32 v[4:5], s[0:1], s3, v9, v[4:5]
	v_add_u32_e32 v35, 0x17a, v32
	v_mad_u64_u32 v[5:6], s[0:1], s2, v35, 0
	v_add_co_u32_e64 v47, s[0:1], v10, v2
	v_mov_b32_e32 v8, v4
	v_mov_b32_e32 v4, v6
	v_addc_co_u32_e64 v48, s[0:1], v11, v3, s[0:1]
	v_lshlrev_b64 v[2:3], 3, v[7:8]
	v_mad_u64_u32 v[6:7], s[0:1], s3, v35, v[4:5]
	v_add_u32_e32 v9, 0x4ec, v32
	v_mad_u64_u32 v[7:8], s[0:1], s2, v9, 0
	v_add_co_u32_e64 v49, s[0:1], v10, v2
	v_mov_b32_e32 v4, v8
	v_addc_co_u32_e64 v50, s[0:1], v11, v3, s[0:1]
	v_lshlrev_b64 v[2:3], 3, v[5:6]
	v_mad_u64_u32 v[4:5], s[0:1], s3, v9, v[4:5]
	v_add_u32_e32 v36, 0x1f8, v32
	;; [unrolled: 15-line block ×4, first 2 shown]
	v_mad_u64_u32 v[5:6], s[0:1], s2, v38, 0
	v_add_co_u32_e64 v59, s[0:1], v10, v2
	v_mov_b32_e32 v8, v4
	v_mov_b32_e32 v4, v6
	v_addc_co_u32_e64 v60, s[0:1], v11, v3, s[0:1]
	v_lshlrev_b64 v[2:3], 3, v[7:8]
	v_mad_u64_u32 v[6:7], s[0:1], s3, v38, v[4:5]
	v_add_u32_e32 v9, 0x666, v32
	v_mad_u64_u32 v[7:8], s[0:1], s2, v9, 0
	v_add_co_u32_e64 v61, s[0:1], v10, v2
	v_mov_b32_e32 v4, v8
	v_addc_co_u32_e64 v62, s[0:1], v11, v3, s[0:1]
	v_lshlrev_b64 v[2:3], 3, v[5:6]
	v_mad_u64_u32 v[4:5], s[0:1], s3, v9, v[4:5]
	v_add_co_u32_e64 v63, s[0:1], v10, v2
	v_mov_b32_e32 v8, v4
	v_addc_co_u32_e64 v64, s[0:1], v11, v3, s[0:1]
	v_lshlrev_b64 v[2:3], 3, v[7:8]
	v_add_co_u32_e64 v65, s[0:1], v10, v2
	v_addc_co_u32_e64 v66, s[0:1], v11, v3, s[0:1]
	global_load_dwordx2 v[4:5], v[39:40], off
	global_load_dwordx2 v[30:31], v[41:42], off
	;; [unrolled: 1-line block ×14, first 2 shown]
.LBB0_13:
	s_or_b64 exec, exec, s[4:5]
	s_waitcnt vmcnt(12)
	v_sub_f32_e32 v44, v5, v31
	v_sub_f32_e32 v40, v4, v30
	v_fma_f32 v43, v5, 2.0, -v44
	s_waitcnt vmcnt(10)
	v_sub_f32_e32 v5, v20, v18
	v_fma_f32 v39, v4, 2.0, -v40
	v_fma_f32 v4, v20, 2.0, -v5
	s_waitcnt vmcnt(8)
	v_sub_f32_e32 v42, v22, v16
	s_waitcnt vmcnt(6)
	v_sub_f32_e32 v7, v24, v7
	v_lshl_add_u32 v16, v32, 3, 0
	v_lshl_add_u32 v31, v33, 3, 0
	v_fma_f32 v41, v22, 2.0, -v42
	v_fma_f32 v6, v24, 2.0, -v7
	s_waitcnt vmcnt(4)
	v_sub_f32_e32 v10, v26, v10
	ds_write_b64 v16, v[39:40]
	ds_write_b64 v31, v[4:5]
	s_waitcnt vmcnt(2)
	v_sub_f32_e32 v5, v28, v14
	v_lshl_add_u32 v39, v34, 3, 0
	v_lshl_add_u32 v40, v35, 3, 0
	v_fma_f32 v9, v26, 2.0, -v10
	v_fma_f32 v4, v28, 2.0, -v5
	ds_write_b64 v39, v[41:42]
	ds_write_b64 v40, v[6:7]
	s_waitcnt vmcnt(0)
	v_sub_f32_e32 v7, v12, v2
	v_lshl_add_u32 v54, v36, 3, 0
	v_lshl_add_u32 v2, v37, 3, 0
	v_fma_f32 v6, v12, 2.0, -v7
	ds_write_b64 v54, v[9:10]
	ds_write_b64 v2, v[4:5]
	v_lshlrev_b32_e32 v4, 2, v32
	v_lshlrev_b32_e32 v67, 2, v35
	v_sub_f32_e32 v19, v21, v19
	v_sub_f32_e32 v12, v27, v11
	v_lshl_add_u32 v28, v38, 3, 0
	v_sub_u32_e32 v26, v16, v4
	v_lshlrev_b32_e32 v4, 2, v37
	v_lshlrev_b32_e32 v58, 2, v33
	;; [unrolled: 1-line block ×3, first 2 shown]
	v_sub_u32_e32 v63, v40, v67
	v_lshlrev_b32_e32 v60, 2, v36
	v_lshlrev_b32_e32 v30, 2, v38
	v_fma_f32 v18, v21, 2.0, -v19
	v_sub_f32_e32 v17, v23, v17
	v_sub_f32_e32 v21, v25, v8
	v_fma_f32 v11, v27, 2.0, -v12
	v_sub_f32_e32 v15, v29, v15
	v_sub_f32_e32 v3, v13, v3
	ds_write_b64 v28, v[6:7]
	s_waitcnt lgkmcnt(0)
	s_barrier
	ds_read_b32 v22, v26
	v_add_u32_e32 v41, 0xc00, v26
	v_sub_u32_e32 v24, v2, v4
	v_sub_u32_e32 v59, v31, v58
	;; [unrolled: 1-line block ×3, first 2 shown]
	v_add_u32_e32 v48, 0x1000, v26
	v_sub_u32_e32 v46, v54, v60
	v_add_u32_e32 v50, 0x1400, v26
	v_sub_u32_e32 v47, v28, v30
	ds_read_b32 v56, v63
	ds_read_b32 v57, v46
	;; [unrolled: 1-line block ×6, first 2 shown]
	ds_read_b32 v42, v26 offset:6552
	ds_read2_b32 v[9:10], v41 offset0:114 offset1:240
	ds_read2_b32 v[6:7], v48 offset0:110 offset1:236
	;; [unrolled: 1-line block ×3, first 2 shown]
	s_waitcnt lgkmcnt(0)
	s_barrier
	ds_write_b64 v16, v[43:44]
	v_fma_f32 v16, v23, 2.0, -v17
	v_fma_f32 v20, v25, 2.0, -v21
	;; [unrolled: 1-line block ×3, first 2 shown]
	ds_write_b64 v31, v[18:19]
	ds_write_b64 v39, v[16:17]
	;; [unrolled: 1-line block ×5, first 2 shown]
	v_fma_f32 v2, v13, 2.0, -v3
	v_and_b32_e32 v11, 1, v32
	ds_write_b64 v28, v[2:3]
	v_lshlrev_b32_e32 v2, 3, v11
	s_waitcnt lgkmcnt(0)
	s_barrier
	global_load_dwordx2 v[2:3], v2, s[8:9]
	ds_read2_b32 v[19:20], v41 offset0:114 offset1:240
	ds_read_b32 v45, v24
	ds_read_b32 v8, v47
	s_movk_i32 s0, 0xfc
	v_lshlrev_b32_e32 v14, 1, v32
	v_and_or_b32 v14, v14, s0, v11
	v_lshl_add_u32 v52, v14, 2, 0
	s_movk_i32 s0, 0x1fc
	v_lshlrev_b32_e32 v14, 1, v33
	v_and_or_b32 v14, v14, s0, v11
	s_movk_i32 s0, 0x3fc
	s_movk_i32 s1, 0x5fc
	v_sub_u32_e32 v66, 0, v65
	v_sub_u32_e32 v65, 0, v67
	s_waitcnt vmcnt(0) lgkmcnt(2)
	v_mul_f32_e32 v12, v19, v3
	v_fmac_f32_e32 v12, v9, v2
	v_sub_f32_e32 v12, v22, v12
	v_fma_f32 v13, v22, 2.0, -v12
	ds_read_b32 v46, v46
	ds_read_b32 v47, v63
	;; [unrolled: 1-line block ×3, first 2 shown]
	ds_read2_b32 v[23:24], v48 offset0:110 offset1:236
	ds_read2_b32 v[21:22], v50 offset0:106 offset1:232
	ds_read_b32 v48, v62
	ds_read_b32 v50, v59
	ds_read_b32 v51, v26 offset:6552
	s_waitcnt lgkmcnt(0)
	s_barrier
	ds_write2_b32 v52, v13, v12 offset1:2
	v_mul_f32_e32 v12, v20, v3
	v_fmac_f32_e32 v12, v10, v2
	v_sub_f32_e32 v12, v53, v12
	v_fma_f32 v13, v53, 2.0, -v12
	v_lshl_add_u32 v53, v14, 2, 0
	ds_write2_b32 v53, v13, v12 offset1:2
	v_mul_f32_e32 v12, v23, v3
	v_fmac_f32_e32 v12, v6, v2
	v_lshlrev_b32_e32 v14, 1, v34
	v_sub_f32_e32 v12, v55, v12
	v_and_or_b32 v14, v14, s0, v11
	v_fma_f32 v13, v55, 2.0, -v12
	v_lshl_add_u32 v55, v14, 2, 0
	ds_write2_b32 v55, v13, v12 offset1:2
	v_mul_f32_e32 v12, v24, v3
	v_fmac_f32_e32 v12, v7, v2
	v_lshlrev_b32_e32 v14, 1, v35
	v_sub_f32_e32 v12, v56, v12
	v_and_or_b32 v14, v14, s0, v11
	v_fma_f32 v13, v56, 2.0, -v12
	v_lshl_add_u32 v56, v14, 2, 0
	ds_write2_b32 v56, v13, v12 offset1:2
	v_mul_f32_e32 v12, v21, v3
	v_fmac_f32_e32 v12, v4, v2
	s_movk_i32 s0, 0x7fc
	v_lshlrev_b32_e32 v14, 1, v36
	v_sub_f32_e32 v12, v57, v12
	v_and_or_b32 v14, v14, s0, v11
	v_fma_f32 v13, v57, 2.0, -v12
	v_lshl_add_u32 v57, v14, 2, 0
	ds_write2_b32 v57, v13, v12 offset1:2
	v_lshlrev_b32_e32 v12, 1, v37
	v_and_or_b32 v12, v12, s1, v11
	v_lshl_add_u32 v37, v12, 2, 0
	v_lshlrev_b32_e32 v12, 1, v38
	v_and_or_b32 v11, v12, s0, v11
	v_sub_u32_e32 v12, 0, v60
	v_mul_f32_e32 v13, v22, v3
	v_add_u32_e32 v25, v54, v12
	v_mul_f32_e32 v12, v51, v3
	v_fmac_f32_e32 v13, v5, v2
	v_fmac_f32_e32 v12, v42, v2
	v_sub_f32_e32 v13, v61, v13
	v_sub_f32_e32 v54, v64, v12
	v_fma_f32 v14, v61, 2.0, -v13
	v_fma_f32 v27, v64, 2.0, -v54
	v_lshl_add_u32 v61, v11, 2, 0
	ds_write2_b32 v37, v14, v13 offset1:2
	ds_write2_b32 v61, v27, v54 offset1:2
	s_waitcnt lgkmcnt(0)
	s_barrier
	ds_read_b32 v38, v62
	ds_read_b32 v29, v63
	;; [unrolled: 1-line block ×4, first 2 shown]
	v_add_u32_e32 v63, 0x800, v26
	v_add_u32_e32 v64, 0x1200, v26
	;; [unrolled: 1-line block ×3, first 2 shown]
	ds_read2_b32 v[17:18], v63 offset0:76 offset1:202
	ds_read2_b32 v[15:16], v64 offset0:24 offset1:150
	;; [unrolled: 1-line block ×4, first 2 shown]
	s_movk_i32 s0, 0x54
	v_sub_u32_e32 v60, 0, v58
	v_cmp_gt_u32_e64 s[0:1], s0, v32
                                        ; implicit-def: $vgpr58
	s_and_saveexec_b64 s[4:5], s[0:1]
	s_cbranch_execz .LBB0_15
; %bb.14:
	ds_read_b32 v54, v26 offset:4368
	ds_read_b32 v27, v25
	ds_read_b32 v58, v26 offset:6720
.LBB0_15:
	s_or_b64 exec, exec, s[4:5]
	v_mul_f32_e32 v9, v9, v3
	v_mul_f32_e32 v10, v10, v3
	;; [unrolled: 1-line block ×5, first 2 shown]
	v_fma_f32 v9, v19, v2, -v9
	v_fma_f32 v10, v20, v2, -v10
	;; [unrolled: 1-line block ×3, first 2 shown]
	v_mul_f32_e32 v7, v7, v3
	v_fma_f32 v4, v21, v2, -v4
	v_fma_f32 v5, v22, v2, -v5
	v_mul_f32_e32 v3, v42, v3
	v_fma_f32 v7, v24, v2, -v7
	v_fma_f32 v2, v51, v2, -v3
	v_sub_f32_e32 v3, v49, v9
	v_sub_f32_e32 v10, v50, v10
	;; [unrolled: 1-line block ×5, first 2 shown]
	v_fma_f32 v9, v49, 2.0, -v3
	v_fma_f32 v19, v50, 2.0, -v10
	;; [unrolled: 1-line block ×3, first 2 shown]
	v_sub_f32_e32 v7, v47, v7
	v_fma_f32 v23, v46, 2.0, -v4
	v_fma_f32 v24, v45, 2.0, -v5
	v_sub_f32_e32 v59, v8, v2
	v_fma_f32 v22, v47, 2.0, -v7
	v_fma_f32 v21, v8, 2.0, -v59
	s_waitcnt lgkmcnt(0)
	s_barrier
	ds_write2_b32 v52, v9, v3 offset1:2
	ds_write2_b32 v53, v19, v10 offset1:2
	;; [unrolled: 1-line block ×7, first 2 shown]
	s_waitcnt lgkmcnt(0)
	s_barrier
	ds_read2_b32 v[8:9], v63 offset0:76 offset1:202
	ds_read2_b32 v[6:7], v64 offset0:24 offset1:150
	v_add_u32_e32 v19, v31, v60
	v_add_u32_e32 v20, v39, v66
	ds_read2_b32 v[4:5], v41 offset0:72 offset1:198
	ds_read2_b32 v[2:3], v62 offset0:20 offset1:146
	v_add_u32_e32 v23, v40, v65
	ds_read_b32 v37, v26
	ds_read_b32 v31, v19
	;; [unrolled: 1-line block ×4, first 2 shown]
                                        ; implicit-def: $vgpr39
	s_and_saveexec_b64 s[4:5], s[0:1]
	s_cbranch_execz .LBB0_17
; %bb.16:
	ds_read_b32 v59, v26 offset:4368
	ds_read_b32 v21, v25
	ds_read_b32 v39, v26 offset:6720
.LBB0_17:
	s_or_b64 exec, exec, s[4:5]
	v_and_b32_e32 v42, 3, v32
	v_lshlrev_b32_e32 v22, 4, v42
	v_and_b32_e32 v40, 3, v33
	global_load_dwordx4 v[60:63], v22, s[8:9] offset:16
	v_lshlrev_b32_e32 v22, 4, v40
	global_load_dwordx4 v[64:67], v22, s[8:9] offset:16
	v_and_b32_e32 v41, 3, v35
	v_lshlrev_b32_e32 v22, 4, v41
	global_load_dwordx4 v[68:71], v22, s[8:9] offset:16
	s_waitcnt vmcnt(0) lgkmcnt(0)
	s_barrier
	v_mul_f32_e32 v52, v8, v61
	v_mul_f32_e32 v53, v6, v63
	;; [unrolled: 1-line block ×7, first 2 shown]
	v_fmac_f32_e32 v50, v18, v64
	v_fmac_f32_e32 v51, v16, v66
	v_mul_f32_e32 v55, v17, v61
	v_mul_f32_e32 v65, v18, v65
	;; [unrolled: 1-line block ×7, first 2 shown]
	v_fmac_f32_e32 v52, v17, v60
	v_fmac_f32_e32 v53, v15, v62
	v_fma_f32 v57, v6, v62, -v57
	v_fmac_f32_e32 v48, v13, v60
	v_fmac_f32_e32 v49, v11, v62
	v_add_f32_e32 v6, v50, v51
	v_mul_f32_e32 v72, v13, v61
	v_mul_f32_e32 v73, v11, v63
	v_fma_f32 v56, v8, v60, -v55
	v_fma_f32 v17, v9, v64, -v65
	;; [unrolled: 1-line block ×3, first 2 shown]
	v_fmac_f32_e32 v22, v14, v68
	v_fma_f32 v13, v5, v68, -v69
	v_fma_f32 v14, v3, v70, -v71
	v_add_f32_e32 v3, v52, v53
	v_add_f32_e32 v5, v43, v50
	;; [unrolled: 1-line block ×3, first 2 shown]
	v_fmac_f32_e32 v43, -0.5, v6
	v_fma_f32 v16, v2, v62, -v73
	v_add_f32_e32 v2, v44, v52
	v_sub_f32_e32 v7, v17, v55
	v_add_f32_e32 v8, v38, v48
	v_fmac_f32_e32 v44, -0.5, v3
	v_fmac_f32_e32 v38, -0.5, v9
	v_mov_b32_e32 v9, v43
	v_mul_f32_e32 v45, v59, v61
	v_mul_f32_e32 v47, v39, v63
	v_fma_f32 v15, v4, v60, -v72
	v_sub_f32_e32 v4, v56, v57
	v_add_f32_e32 v3, v5, v51
	v_add_f32_e32 v5, v8, v49
	v_mov_b32_e32 v8, v44
	v_fmac_f32_e32 v43, 0x3f5db3d7, v7
	v_fmac_f32_e32 v9, 0xbf5db3d7, v7
	v_lshrrev_b32_e32 v7, 2, v33
	v_mul_f32_e32 v61, v54, v61
	v_fmac_f32_e32 v45, v54, v60
	v_fmac_f32_e32 v47, v58, v62
	v_fmac_f32_e32 v44, 0x3f5db3d7, v4
	v_fmac_f32_e32 v8, 0xbf5db3d7, v4
	v_lshrrev_b32_e32 v4, 2, v32
	v_mul_lo_u32 v7, v7, 12
	v_fma_f32 v11, v59, v60, -v61
	v_add_f32_e32 v60, v45, v47
	v_mul_u32_u24_e32 v4, 12, v4
	v_sub_f32_e32 v54, v15, v16
	v_add_f32_e32 v59, v27, v45
	v_fmac_f32_e32 v27, -0.5, v60
	v_mov_b32_e32 v60, v38
	v_or_b32_e32 v4, v4, v42
	v_add_f32_e32 v2, v2, v53
	v_fmac_f32_e32 v38, 0x3f5db3d7, v54
	v_fmac_f32_e32 v60, 0xbf5db3d7, v54
	v_lshl_add_u32 v54, v4, 2, 0
	ds_write2_b32 v54, v2, v8 offset1:4
	ds_write_b32 v54, v44 offset:32
	v_or_b32_e32 v2, v7, v40
	v_lshrrev_b32_e32 v4, 2, v34
	v_lshl_add_u32 v44, v2, 2, 0
	v_mul_lo_u32 v4, v4, 12
	ds_write2_b32 v44, v3, v9 offset1:4
	ds_write_b32 v44, v43 offset:32
	v_lshrrev_b32_e32 v3, 2, v35
	v_mul_lo_u32 v3, v3, 12
	v_mul_f32_e32 v63, v58, v63
	v_fmac_f32_e32 v46, v12, v70
	v_fma_f32 v12, v39, v62, -v63
	v_add_f32_e32 v39, v22, v46
	v_add_f32_e32 v18, v29, v22
	v_fmac_f32_e32 v29, -0.5, v39
	v_or_b32_e32 v2, v4, v42
	v_sub_f32_e32 v58, v13, v14
	v_sub_f32_e32 v61, v11, v12
	v_add_f32_e32 v6, v18, v46
	v_add_f32_e32 v18, v59, v47
	v_mov_b32_e32 v62, v29
	v_mov_b32_e32 v39, v27
	v_lshl_add_u32 v59, v2, 2, 0
	v_or_b32_e32 v2, v3, v41
	v_fmac_f32_e32 v29, 0x3f5db3d7, v58
	v_fmac_f32_e32 v62, 0xbf5db3d7, v58
	;; [unrolled: 1-line block ×4, first 2 shown]
	ds_write2_b32 v59, v5, v60 offset1:4
	ds_write_b32 v59, v38 offset:32
	v_lshl_add_u32 v60, v2, 2, 0
	v_lshrrev_b32_e32 v58, 2, v36
	ds_write2_b32 v60, v6, v62 offset1:4
	ds_write_b32 v60, v29 offset:32
	s_and_saveexec_b64 s[4:5], s[0:1]
	s_cbranch_execz .LBB0_19
; %bb.18:
	v_mul_lo_u32 v2, v58, 12
	v_or_b32_e32 v2, v2, v42
	v_lshl_add_u32 v2, v2, 2, 0
	ds_write2_b32 v2, v18, v39 offset1:4
	ds_write_b32 v2, v27 offset:32
.LBB0_19:
	s_or_b64 exec, exec, s[4:5]
	v_add_u32_e32 v2, 0x800, v26
	s_waitcnt lgkmcnt(0)
	s_barrier
	ds_read2_b32 v[6:7], v2 offset0:76 offset1:202
	v_add_u32_e32 v2, 0x1200, v26
	ds_read2_b32 v[8:9], v2 offset0:24 offset1:150
	v_add_u32_e32 v2, 0xc00, v26
	v_add_u32_e32 v4, 0x1600, v26
	ds_read2_b32 v[2:3], v2 offset0:72 offset1:198
	ds_read2_b32 v[4:5], v4 offset0:20 offset1:146
	ds_read_b32 v41, v26
	ds_read_b32 v40, v19
	;; [unrolled: 1-line block ×4, first 2 shown]
	s_and_saveexec_b64 s[4:5], s[0:1]
	s_cbranch_execz .LBB0_21
; %bb.20:
	ds_read_b32 v39, v26 offset:4368
	ds_read_b32 v18, v25
	ds_read_b32 v27, v26 offset:6720
.LBB0_21:
	s_or_b64 exec, exec, s[4:5]
	v_add_f32_e32 v43, v37, v56
	v_add_f32_e32 v61, v43, v57
	;; [unrolled: 1-line block ×3, first 2 shown]
	v_fmac_f32_e32 v37, -0.5, v43
	v_sub_f32_e32 v43, v52, v53
	v_mov_b32_e32 v52, v37
	v_fmac_f32_e32 v52, 0x3f5db3d7, v43
	v_fmac_f32_e32 v37, 0xbf5db3d7, v43
	v_add_f32_e32 v43, v31, v17
	v_add_f32_e32 v17, v17, v55
	v_fmac_f32_e32 v31, -0.5, v17
	v_sub_f32_e32 v17, v50, v51
	v_mov_b32_e32 v50, v31
	v_fmac_f32_e32 v50, 0x3f5db3d7, v17
	v_fmac_f32_e32 v31, 0xbf5db3d7, v17
	v_add_f32_e32 v17, v24, v15
	v_add_f32_e32 v15, v15, v16
	v_fmac_f32_e32 v24, -0.5, v15
	v_add_f32_e32 v17, v17, v16
	v_sub_f32_e32 v15, v48, v49
	v_mov_b32_e32 v16, v24
	v_fmac_f32_e32 v16, 0x3f5db3d7, v15
	v_fmac_f32_e32 v24, 0xbf5db3d7, v15
	v_add_f32_e32 v15, v10, v13
	v_add_f32_e32 v13, v13, v14
	v_fmac_f32_e32 v10, -0.5, v13
	v_add_f32_e32 v15, v15, v14
	;; [unrolled: 8-line block ×3, first 2 shown]
	v_sub_f32_e32 v11, v45, v47
	v_mov_b32_e32 v43, v21
	v_add_f32_e32 v22, v13, v12
	v_fmac_f32_e32 v43, 0x3f5db3d7, v11
	v_fmac_f32_e32 v21, 0xbf5db3d7, v11
	s_waitcnt lgkmcnt(0)
	s_barrier
	ds_write2_b32 v54, v61, v52 offset1:4
	ds_write_b32 v54, v37 offset:32
	ds_write2_b32 v44, v53, v50 offset1:4
	ds_write_b32 v44, v31 offset:32
	;; [unrolled: 2-line block ×4, first 2 shown]
	s_and_saveexec_b64 s[4:5], s[0:1]
	s_cbranch_execz .LBB0_23
; %bb.22:
	v_mul_lo_u32 v10, v58, 12
	v_or_b32_e32 v10, v10, v42
	v_lshl_add_u32 v10, v10, 2, 0
	ds_write2_b32 v10, v22, v43 offset1:4
	ds_write_b32 v10, v21 offset:32
.LBB0_23:
	s_or_b64 exec, exec, s[4:5]
	v_add_u32_e32 v10, 0x800, v26
	s_waitcnt lgkmcnt(0)
	s_barrier
	ds_read2_b32 v[14:15], v10 offset0:76 offset1:202
	v_add_u32_e32 v10, 0x1200, v26
	ds_read2_b32 v[16:17], v10 offset0:24 offset1:150
	v_add_u32_e32 v10, 0xc00, v26
	v_add_u32_e32 v12, 0x1600, v26
	ds_read2_b32 v[10:11], v10 offset0:72 offset1:198
	ds_read2_b32 v[12:13], v12 offset0:20 offset1:146
	ds_read_b32 v37, v26
	ds_read_b32 v31, v19
	;; [unrolled: 1-line block ×4, first 2 shown]
	s_and_saveexec_b64 s[4:5], s[0:1]
	s_cbranch_execz .LBB0_25
; %bb.24:
	ds_read_b32 v43, v26 offset:4368
	ds_read_b32 v22, v25
	ds_read_b32 v21, v26 offset:6720
.LBB0_25:
	s_or_b64 exec, exec, s[4:5]
	s_movk_i32 s4, 0xab
	v_mul_lo_u16_sdwa v42, v32, s4 dst_sel:DWORD dst_unused:UNUSED_PAD src0_sel:BYTE_0 src1_sel:DWORD
	v_mul_lo_u16_sdwa v45, v33, s4 dst_sel:DWORD dst_unused:UNUSED_PAD src0_sel:BYTE_0 src1_sel:DWORD
	v_lshrrev_b16_e32 v70, 11, v42
	v_lshrrev_b16_e32 v72, 11, v45
	v_mul_lo_u16_e32 v42, 12, v70
	v_mul_lo_u16_e32 v45, 12, v72
	v_sub_u16_e32 v71, v32, v42
	v_mov_b32_e32 v42, 4
	v_sub_u16_e32 v73, v33, v45
	v_lshlrev_b32_sdwa v44, v42, v71 dst_sel:DWORD dst_unused:UNUSED_PAD src0_sel:DWORD src1_sel:BYTE_0
	v_lshlrev_b32_sdwa v42, v42, v73 dst_sel:DWORD dst_unused:UNUSED_PAD src0_sel:DWORD src1_sel:BYTE_0
	s_mov_b32 s4, 0xaaab
	global_load_dwordx4 v[50:53], v44, s[8:9] offset:80
	global_load_dwordx4 v[54:57], v42, s[8:9] offset:80
	v_mul_u32_u24_sdwa v42, v34, s4 dst_sel:DWORD dst_unused:UNUSED_PAD src0_sel:WORD_0 src1_sel:DWORD
	v_lshrrev_b32_e32 v74, 19, v42
	v_mul_lo_u16_e32 v42, 12, v74
	v_sub_u16_e32 v75, v34, v42
	v_mul_u32_u24_sdwa v42, v35, s4 dst_sel:DWORD dst_unused:UNUSED_PAD src0_sel:WORD_0 src1_sel:DWORD
	v_lshrrev_b32_e32 v76, 19, v42
	v_mul_lo_u16_e32 v42, 12, v76
	v_lshlrev_b32_e32 v34, 4, v75
	v_sub_u16_e32 v77, v35, v42
	global_load_dwordx4 v[58:61], v34, s[8:9] offset:80
	v_lshlrev_b32_e32 v34, 4, v77
	global_load_dwordx4 v[62:65], v34, s[8:9] offset:80
	v_mul_u32_u24_sdwa v34, v36, s4 dst_sel:DWORD dst_unused:UNUSED_PAD src0_sel:WORD_0 src1_sel:DWORD
	v_lshrrev_b32_e32 v78, 19, v34
	v_mul_lo_u16_e32 v34, 12, v78
	v_sub_u16_e32 v79, v36, v34
	v_lshlrev_b32_e32 v34, 4, v79
	global_load_dwordx4 v[66:69], v34, s[8:9] offset:80
	v_sub_u32_e32 v35, 0, v30
	s_waitcnt vmcnt(0) lgkmcnt(0)
	s_barrier
	v_mul_f32_e32 v48, v14, v51
	v_mul_f32_e32 v49, v16, v53
	;; [unrolled: 1-line block ×4, first 2 shown]
	v_fmac_f32_e32 v48, v6, v50
	v_fmac_f32_e32 v49, v8, v52
	v_mul_f32_e32 v51, v6, v51
	v_mul_f32_e32 v53, v8, v53
	;; [unrolled: 1-line block ×3, first 2 shown]
	v_fmac_f32_e32 v46, v7, v54
	v_fmac_f32_e32 v47, v9, v56
	v_mul_f32_e32 v45, v12, v61
	v_mul_f32_e32 v61, v4, v61
	;; [unrolled: 1-line block ×3, first 2 shown]
	v_add_f32_e32 v9, v48, v49
	v_mul_f32_e32 v44, v10, v59
	v_mul_f32_e32 v59, v2, v59
	;; [unrolled: 1-line block ×5, first 2 shown]
	v_fma_f32 v14, v14, v50, -v51
	v_fma_f32 v16, v16, v52, -v53
	v_fmac_f32_e32 v45, v4, v60
	v_fma_f32 v4, v12, v60, -v61
	v_fmac_f32_e32 v42, v5, v64
	v_add_f32_e32 v5, v41, v48
	v_add_f32_e32 v12, v46, v47
	v_fmac_f32_e32 v41, -0.5, v9
	v_mul_f32_e32 v55, v7, v55
	v_fmac_f32_e32 v44, v2, v58
	v_fma_f32 v6, v10, v58, -v59
	v_fma_f32 v2, v11, v62, -v63
	v_sub_f32_e32 v10, v14, v16
	v_add_f32_e32 v11, v40, v46
	v_fmac_f32_e32 v40, -0.5, v12
	v_mov_b32_e32 v12, v41
	v_fma_f32 v7, v15, v54, -v55
	v_fma_f32 v8, v17, v56, -v57
	v_add_f32_e32 v15, v38, v44
	v_fmac_f32_e32 v41, 0x3f5db3d7, v10
	v_fmac_f32_e32 v12, 0xbf5db3d7, v10
	v_add_f32_e32 v10, v44, v45
	v_mul_f32_e32 v34, v21, v69
	v_fmac_f32_e32 v36, v3, v62
	v_fma_f32 v3, v13, v64, -v65
	v_sub_f32_e32 v13, v7, v8
	v_add_f32_e32 v9, v11, v47
	v_add_f32_e32 v11, v15, v45
	v_mov_b32_e32 v15, v40
	v_fmac_f32_e32 v38, -0.5, v10
	v_mul_f32_e32 v69, v27, v69
	v_fmac_f32_e32 v34, v27, v68
	v_fmac_f32_e32 v40, 0x3f5db3d7, v13
	;; [unrolled: 1-line block ×3, first 2 shown]
	v_sub_f32_e32 v10, v6, v4
	v_mov_b32_e32 v13, v38
	v_add_f32_e32 v27, v36, v42
	v_mul_f32_e32 v30, v43, v67
	v_fmac_f32_e32 v13, 0xbf5db3d7, v10
	v_fmac_f32_e32 v38, 0x3f5db3d7, v10
	v_add_f32_e32 v10, v29, v36
	v_fmac_f32_e32 v29, -0.5, v27
	v_mul_f32_e32 v67, v39, v67
	v_fmac_f32_e32 v30, v39, v66
	v_sub_f32_e32 v27, v2, v3
	v_mov_b32_e32 v39, v29
	v_mov_b32_e32 v50, 2
	v_fma_f32 v17, v43, v66, -v67
	v_fmac_f32_e32 v39, 0xbf5db3d7, v27
	v_fmac_f32_e32 v29, 0x3f5db3d7, v27
	v_mul_u32_u24_e32 v27, 0x90, v70
	v_lshlrev_b32_sdwa v43, v50, v71 dst_sel:DWORD dst_unused:UNUSED_PAD src0_sel:DWORD src1_sel:BYTE_0
	v_add_f32_e32 v5, v5, v49
	v_add3_u32 v43, 0, v27, v43
	ds_write2_b32 v43, v5, v12 offset1:12
	ds_write_b32 v43, v41 offset:96
	v_mul_u32_u24_e32 v5, 0x90, v72
	v_lshlrev_b32_sdwa v12, v50, v73 dst_sel:DWORD dst_unused:UNUSED_PAD src0_sel:DWORD src1_sel:BYTE_0
	v_add3_u32 v41, 0, v5, v12
	ds_write2_b32 v41, v9, v15 offset1:12
	ds_write_b32 v41, v40 offset:96
	v_mul_u32_u24_e32 v5, 0x90, v74
	v_lshlrev_b32_e32 v9, 2, v75
	v_add3_u32 v40, 0, v5, v9
	v_mul_u32_u24_e32 v5, 0x90, v76
	v_lshlrev_b32_e32 v9, 2, v77
	v_add_f32_e32 v10, v10, v42
	v_add3_u32 v50, 0, v5, v9
	v_fma_f32 v21, v21, v68, -v69
	ds_write2_b32 v40, v11, v13 offset1:12
	ds_write_b32 v40, v38 offset:96
	ds_write2_b32 v50, v10, v39 offset1:12
	ds_write_b32 v50, v29 offset:96
	v_mul_lo_u16_e32 v38, 36, v78
	v_lshlrev_b32_e32 v39, 2, v79
	s_and_saveexec_b64 s[4:5], s[0:1]
	s_cbranch_execz .LBB0_27
; %bb.26:
	v_add_f32_e32 v5, v30, v34
	v_fma_f32 v5, -0.5, v5, v18
	v_sub_f32_e32 v9, v17, v21
	v_mov_b32_e32 v10, v5
	v_fmac_f32_e32 v10, 0x3f5db3d7, v9
	v_fmac_f32_e32 v5, 0xbf5db3d7, v9
	v_add_f32_e32 v9, v18, v30
	v_lshlrev_b32_e32 v11, 2, v38
	v_add_f32_e32 v9, v9, v34
	v_add3_u32 v11, 0, v39, v11
	ds_write2_b32 v11, v9, v5 offset1:12
	ds_write_b32 v11, v10 offset:96
.LBB0_27:
	s_or_b64 exec, exec, s[4:5]
	v_add_f32_e32 v5, v37, v14
	v_add_f32_e32 v51, v5, v16
	v_add_f32_e32 v5, v14, v16
	v_fmac_f32_e32 v37, -0.5, v5
	v_sub_f32_e32 v5, v48, v49
	v_mov_b32_e32 v48, v37
	v_fmac_f32_e32 v48, 0x3f5db3d7, v5
	v_fmac_f32_e32 v37, 0xbf5db3d7, v5
	v_add_f32_e32 v5, v31, v7
	v_add_f32_e32 v49, v5, v8
	v_add_f32_e32 v5, v7, v8
	v_fmac_f32_e32 v31, -0.5, v5
	v_sub_f32_e32 v5, v46, v47
	v_mov_b32_e32 v46, v31
	v_fmac_f32_e32 v46, 0x3f5db3d7, v5
	v_fmac_f32_e32 v31, 0xbf5db3d7, v5
	v_add_f32_e32 v5, v24, v6
	v_add_f32_e32 v47, v5, v4
	v_add_f32_e32 v4, v6, v4
	v_fmac_f32_e32 v24, -0.5, v4
	v_sub_f32_e32 v4, v44, v45
	v_mov_b32_e32 v44, v24
	v_fmac_f32_e32 v44, 0x3f5db3d7, v4
	v_fmac_f32_e32 v24, 0xbf5db3d7, v4
	v_add_f32_e32 v4, v23, v2
	v_add_f32_e32 v2, v2, v3
	v_fmac_f32_e32 v23, -0.5, v2
	v_sub_f32_e32 v2, v36, v42
	v_mov_b32_e32 v36, v23
	v_add_u32_e32 v12, 0xc00, v26
	v_add_u32_e32 v13, 0x1000, v26
	;; [unrolled: 1-line block ×4, first 2 shown]
	v_add_f32_e32 v45, v4, v3
	v_fmac_f32_e32 v36, 0x3f5db3d7, v2
	v_fmac_f32_e32 v23, 0xbf5db3d7, v2
	s_waitcnt lgkmcnt(0)
	s_barrier
	ds_read_b32 v16, v26
	v_add_u32_e32 v10, v28, v35
	ds_read_b32 v28, v25
	ds_read_b32 v27, v10
	ds_read2_b32 v[2:3], v12 offset0:114 offset1:240
	ds_read2_b32 v[4:5], v13 offset0:110 offset1:236
	;; [unrolled: 1-line block ×4, first 2 shown]
	ds_read_b32 v29, v20
	ds_read_b32 v11, v19
	ds_read_b32 v18, v26 offset:6552
	s_waitcnt lgkmcnt(0)
	s_barrier
	ds_write2_b32 v43, v51, v48 offset1:12
	ds_write_b32 v43, v37 offset:96
	ds_write2_b32 v41, v49, v46 offset1:12
	ds_write_b32 v41, v31 offset:96
	;; [unrolled: 2-line block ×4, first 2 shown]
	s_and_saveexec_b64 s[4:5], s[0:1]
	s_cbranch_execz .LBB0_29
; %bb.28:
	v_add_f32_e32 v23, v22, v17
	v_add_f32_e32 v17, v17, v21
	v_fmac_f32_e32 v22, -0.5, v17
	v_add_f32_e32 v23, v23, v21
	v_sub_f32_e32 v17, v30, v34
	v_mov_b32_e32 v21, v22
	v_fmac_f32_e32 v21, 0x3f5db3d7, v17
	v_fmac_f32_e32 v22, 0xbf5db3d7, v17
	v_lshlrev_b32_e32 v17, 2, v38
	v_add3_u32 v17, 0, v39, v17
	ds_write2_b32 v17, v23, v21 offset1:12
	ds_write_b32 v17, v22 offset:96
.LBB0_29:
	s_or_b64 exec, exec, s[4:5]
	v_mov_b32_e32 v17, 57
	v_mul_lo_u16_sdwa v21, v32, v17 dst_sel:DWORD dst_unused:UNUSED_PAD src0_sel:BYTE_0 src1_sel:DWORD
	v_lshrrev_b16_e32 v60, 11, v21
	v_mul_lo_u16_sdwa v17, v33, v17 dst_sel:DWORD dst_unused:UNUSED_PAD src0_sel:BYTE_0 src1_sel:DWORD
	v_mul_lo_u16_e32 v21, 36, v60
	v_lshrrev_b16_e32 v17, 11, v17
	v_sub_u16_e32 v61, v32, v21
	v_mov_b32_e32 v30, 6
	v_mul_lo_u16_e32 v42, 36, v17
	v_mul_u32_u24_sdwa v21, v61, v30 dst_sel:DWORD dst_unused:UNUSED_PAD src0_sel:BYTE_0 src1_sel:DWORD
	v_sub_u16_e32 v62, v33, v42
	v_lshlrev_b32_e32 v31, 3, v21
	v_mul_u32_u24_sdwa v30, v62, v30 dst_sel:DWORD dst_unused:UNUSED_PAD src0_sel:BYTE_0 src1_sel:DWORD
	s_waitcnt lgkmcnt(0)
	s_barrier
	global_load_dwordx4 v[21:24], v31, s[8:9] offset:272
	global_load_dwordx4 v[34:37], v31, s[8:9] offset:288
	;; [unrolled: 1-line block ×3, first 2 shown]
	v_lshlrev_b32_e32 v30, 3, v30
	global_load_dwordx4 v[42:45], v30, s[8:9] offset:272
	global_load_dwordx4 v[46:49], v30, s[8:9] offset:288
	;; [unrolled: 1-line block ×3, first 2 shown]
	ds_read_b32 v63, v26
	ds_read_b32 v64, v25
	ds_read2_b32 v[30:31], v12 offset0:114 offset1:240
	ds_read2_b32 v[54:55], v13 offset0:110 offset1:236
	ds_read_b32 v65, v10
	ds_read_b32 v66, v20
	ds_read2_b32 v[56:57], v14 offset0:106 offset1:232
	ds_read2_b32 v[58:59], v15 offset0:2 offset1:254
	ds_read_b32 v67, v19
	ds_read_b32 v68, v26 offset:6552
	s_mov_b32 s0, 0xbf5ff5aa
	s_mov_b32 s1, 0x3f3bfb3b
	;; [unrolled: 1-line block ×4, first 2 shown]
	s_waitcnt vmcnt(0) lgkmcnt(0)
	s_barrier
	v_mul_f32_e32 v69, v66, v22
	v_mul_f32_e32 v22, v29, v22
	;; [unrolled: 1-line block ×13, first 2 shown]
	v_fmac_f32_e32 v69, v29, v21
	v_mul_f32_e32 v29, v8, v43
	v_fma_f32 v21, v66, v21, -v22
	v_mul_f32_e32 v22, v59, v45
	v_fmac_f32_e32 v70, v28, v23
	v_mul_f32_e32 v28, v9, v45
	v_fma_f32 v23, v64, v23, -v24
	v_mul_f32_e32 v24, v30, v47
	v_mul_f32_e32 v43, v2, v47
	;; [unrolled: 1-line block ×5, first 2 shown]
	v_fmac_f32_e32 v71, v27, v34
	v_mul_f32_e32 v27, v6, v51
	v_fmac_f32_e32 v73, v5, v38
	v_fmac_f32_e32 v74, v7, v40
	v_fma_f32 v7, v57, v40, -v41
	v_fma_f32 v34, v65, v34, -v35
	v_fmac_f32_e32 v72, v3, v36
	v_fma_f32 v3, v31, v36, -v37
	v_fma_f32 v5, v55, v38, -v39
	v_fmac_f32_e32 v22, v9, v44
	v_fma_f32 v9, v59, v44, -v28
	v_fmac_f32_e32 v49, v6, v50
	v_fma_f32 v6, v56, v50, -v27
	v_add_f32_e32 v27, v69, v74
	v_add_f32_e32 v28, v21, v7
	v_sub_f32_e32 v7, v21, v7
	v_add_f32_e32 v21, v70, v73
	v_fmac_f32_e32 v24, v2, v46
	v_fma_f32 v2, v30, v46, -v43
	v_add_f32_e32 v30, v23, v5
	v_sub_f32_e32 v5, v23, v5
	v_add_f32_e32 v23, v71, v72
	v_add_f32_e32 v36, v34, v3
	v_sub_f32_e32 v3, v3, v34
	v_add_f32_e32 v34, v21, v27
	v_mul_f32_e32 v35, v68, v53
	v_mul_f32_e32 v31, v18, v53
	v_add_f32_e32 v38, v30, v28
	v_sub_f32_e32 v39, v21, v27
	v_sub_f32_e32 v27, v27, v23
	v_sub_f32_e32 v21, v23, v21
	v_add_f32_e32 v23, v23, v34
	v_fmac_f32_e32 v75, v8, v42
	v_fma_f32 v8, v58, v42, -v29
	v_fmac_f32_e32 v35, v18, v52
	v_fma_f32 v18, v68, v52, -v31
	v_sub_f32_e32 v29, v69, v74
	v_sub_f32_e32 v31, v70, v73
	;; [unrolled: 1-line block ×3, first 2 shown]
	v_add_f32_e32 v34, v36, v38
	v_add_f32_e32 v16, v16, v23
	v_fmac_f32_e32 v45, v4, v48
	v_fma_f32 v4, v54, v48, -v47
	v_sub_f32_e32 v40, v30, v28
	v_sub_f32_e32 v28, v28, v36
	;; [unrolled: 1-line block ×3, first 2 shown]
	v_add_f32_e32 v41, v37, v31
	v_add_f32_e32 v42, v3, v5
	v_sub_f32_e32 v43, v37, v31
	v_sub_f32_e32 v44, v3, v5
	;; [unrolled: 1-line block ×3, first 2 shown]
	v_add_f32_e32 v36, v63, v34
	v_mov_b32_e32 v47, v16
	v_sub_f32_e32 v37, v29, v37
	v_sub_f32_e32 v3, v7, v3
	;; [unrolled: 1-line block ×3, first 2 shown]
	v_add_f32_e32 v7, v42, v7
	v_mul_f32_e32 v27, 0x3f4a47b2, v27
	v_mul_f32_e32 v28, 0x3f4a47b2, v28
	v_mul_f32_e32 v38, 0x3d64c772, v21
	v_mul_f32_e32 v42, 0x3f08b237, v43
	v_mul_f32_e32 v43, 0x3f08b237, v44
	v_mul_f32_e32 v44, 0xbf5ff5aa, v31
	v_fmac_f32_e32 v47, 0xbf955555, v23
	v_mov_b32_e32 v23, v36
	v_add_f32_e32 v29, v41, v29
	v_mul_f32_e32 v41, 0x3d64c772, v30
	v_mul_f32_e32 v46, 0xbf5ff5aa, v5
	v_fmac_f32_e32 v23, 0xbf955555, v34
	v_fma_f32 v34, v39, s1, -v38
	v_fma_f32 v39, v39, s4, -v27
	v_fmac_f32_e32 v27, 0x3d64c772, v21
	v_fma_f32 v21, v40, s4, -v28
	v_fmac_f32_e32 v28, 0x3d64c772, v30
	v_fma_f32 v30, v31, s0, -v42
	v_fma_f32 v5, v5, s0, -v43
	;; [unrolled: 1-line block ×4, first 2 shown]
	v_fmac_f32_e32 v43, 0xbeae86e6, v3
	v_fma_f32 v3, v3, s5, -v46
	v_add_f32_e32 v34, v34, v47
	v_add_f32_e32 v21, v21, v23
	v_fmac_f32_e32 v5, 0xbee1c552, v7
	v_fmac_f32_e32 v31, 0xbee1c552, v29
	;; [unrolled: 1-line block ×3, first 2 shown]
	v_add_f32_e32 v37, v38, v23
	v_add_f32_e32 v38, v39, v47
	v_fmac_f32_e32 v30, 0xbee1c552, v29
	v_fmac_f32_e32 v3, 0xbee1c552, v7
	v_sub_f32_e32 v39, v21, v31
	v_sub_f32_e32 v40, v34, v5
	v_add_f32_e32 v5, v5, v34
	v_add_f32_e32 v21, v31, v21
	;; [unrolled: 1-line block ×4, first 2 shown]
	v_sub_f32_e32 v8, v8, v18
	v_add_f32_e32 v18, v22, v49
	v_add_f32_e32 v28, v28, v23
	v_fmac_f32_e32 v42, 0xbee1c552, v29
	v_add_f32_e32 v29, v3, v38
	v_add_f32_e32 v41, v30, v37
	v_sub_f32_e32 v30, v37, v30
	v_sub_f32_e32 v3, v38, v3
	v_add_f32_e32 v37, v9, v6
	v_sub_f32_e32 v6, v9, v6
	v_add_f32_e32 v9, v24, v45
	v_add_f32_e32 v38, v2, v4
	v_sub_f32_e32 v2, v4, v2
	v_add_f32_e32 v4, v18, v31
	v_add_f32_e32 v27, v27, v47
	v_fmac_f32_e32 v43, 0xbee1c552, v7
	v_sub_f32_e32 v23, v28, v42
	v_add_f32_e32 v28, v42, v28
	v_add_f32_e32 v42, v37, v34
	;; [unrolled: 1-line block ×4, first 2 shown]
	v_sub_f32_e32 v27, v27, v43
	v_sub_f32_e32 v35, v75, v35
	;; [unrolled: 1-line block ×7, first 2 shown]
	v_add_f32_e32 v9, v38, v42
	v_add_f32_e32 v11, v11, v4
	v_sub_f32_e32 v44, v37, v34
	v_sub_f32_e32 v34, v34, v38
	;; [unrolled: 1-line block ×3, first 2 shown]
	v_add_f32_e32 v45, v24, v22
	v_add_f32_e32 v46, v2, v6
	v_sub_f32_e32 v47, v24, v22
	v_sub_f32_e32 v48, v2, v6
	;; [unrolled: 1-line block ×3, first 2 shown]
	v_add_f32_e32 v38, v67, v9
	v_mov_b32_e32 v50, v11
	v_sub_f32_e32 v24, v35, v24
	v_sub_f32_e32 v2, v8, v2
	;; [unrolled: 1-line block ×3, first 2 shown]
	v_add_f32_e32 v35, v45, v35
	v_add_f32_e32 v8, v46, v8
	v_mul_f32_e32 v31, 0x3f4a47b2, v31
	v_mul_f32_e32 v34, 0x3f4a47b2, v34
	;; [unrolled: 1-line block ×7, first 2 shown]
	v_fmac_f32_e32 v50, 0xbf955555, v4
	v_mov_b32_e32 v4, v38
	v_mul_f32_e32 v49, 0xbf5ff5aa, v6
	v_fmac_f32_e32 v4, 0xbf955555, v9
	v_fma_f32 v9, v43, s1, -v42
	v_fma_f32 v42, v44, s1, -v45
	;; [unrolled: 1-line block ×3, first 2 shown]
	v_fmac_f32_e32 v31, 0x3d64c772, v18
	v_fma_f32 v18, v44, s4, -v34
	v_fmac_f32_e32 v34, 0x3d64c772, v37
	v_fma_f32 v22, v22, s0, -v46
	;; [unrolled: 2-line block ×4, first 2 shown]
	v_fma_f32 v2, v2, s5, -v49
	v_add_f32_e32 v31, v31, v50
	v_add_f32_e32 v34, v34, v4
	;; [unrolled: 1-line block ×4, first 2 shown]
	v_fmac_f32_e32 v46, 0xbee1c552, v35
	v_fmac_f32_e32 v47, 0xbee1c552, v8
	;; [unrolled: 1-line block ×3, first 2 shown]
	v_add_f32_e32 v9, v9, v50
	v_add_f32_e32 v42, v43, v50
	v_fmac_f32_e32 v22, 0xbee1c552, v35
	v_fmac_f32_e32 v6, 0xbee1c552, v8
	;; [unrolled: 1-line block ×3, first 2 shown]
	v_add_f32_e32 v8, v47, v31
	v_sub_f32_e32 v18, v34, v46
	v_sub_f32_e32 v43, v4, v24
	v_add_f32_e32 v24, v24, v4
	v_sub_f32_e32 v4, v31, v47
	v_add_f32_e32 v31, v46, v34
	v_mov_b32_e32 v34, 2
	v_sub_f32_e32 v44, v9, v6
	v_add_f32_e32 v45, v22, v37
	v_add_f32_e32 v6, v6, v9
	v_sub_f32_e32 v22, v37, v22
	v_mul_u32_u24_e32 v9, 0x3f0, v60
	v_lshlrev_b32_sdwa v37, v34, v61 dst_sel:DWORD dst_unused:UNUSED_PAD src0_sel:DWORD src1_sel:BYTE_0
	v_add3_u32 v37, 0, v9, v37
	ds_write2_b32 v37, v16, v7 offset1:36
	ds_write2_b32 v37, v29, v40 offset0:72 offset1:108
	ds_write2_b32 v37, v5, v3 offset0:144 offset1:180
	ds_write_b32 v37, v27 offset:864
	v_mul_u32_u24_e32 v3, 0x3f0, v17
	v_lshlrev_b32_sdwa v5, v34, v62 dst_sel:DWORD dst_unused:UNUSED_PAD src0_sel:DWORD src1_sel:BYTE_0
	v_add_f32_e32 v35, v2, v42
	v_sub_f32_e32 v2, v42, v2
	v_add3_u32 v17, 0, v3, v5
	ds_write2_b32 v17, v11, v8 offset1:36
	ds_write2_b32 v17, v35, v44 offset0:72 offset1:108
	ds_write2_b32 v17, v6, v2 offset0:144 offset1:180
	ds_write_b32 v17, v4 offset:864
	s_waitcnt lgkmcnt(0)
	s_barrier
	ds_read_b32 v11, v26
	ds_read2_b32 v[4:5], v12 offset0:114 offset1:240
	ds_read2_b32 v[2:3], v13 offset0:110 offset1:236
	;; [unrolled: 1-line block ×4, first 2 shown]
	ds_read_b32 v12, v25
	ds_read_b32 v13, v10
	;; [unrolled: 1-line block ×4, first 2 shown]
	ds_read_b32 v16, v26 offset:6552
	s_waitcnt lgkmcnt(0)
	s_barrier
	ds_write2_b32 v37, v36, v23 offset1:36
	ds_write2_b32 v37, v39, v41 offset0:72 offset1:108
	ds_write2_b32 v37, v30, v21 offset0:144 offset1:180
	ds_write_b32 v37, v28 offset:864
	ds_write2_b32 v17, v38, v18 offset1:36
	ds_write2_b32 v17, v43, v45 offset0:72 offset1:108
	ds_write2_b32 v17, v22, v24 offset0:144 offset1:180
	ds_write_b32 v17, v31 offset:864
	s_waitcnt lgkmcnt(0)
	s_barrier
	s_and_saveexec_b64 s[6:7], vcc
	s_cbranch_execz .LBB0_31
; %bb.30:
	v_mul_i32_i24_e32 v17, 6, v33
	v_mov_b32_e32 v18, 0
	v_lshlrev_b64 v[17:18], 3, v[17:18]
	v_mov_b32_e32 v21, s9
	v_add_co_u32_e32 v17, vcc, s8, v17
	v_addc_co_u32_e32 v18, vcc, v21, v18, vcc
	global_load_dwordx4 v[21:24], v[17:18], off offset:2000
	global_load_dwordx4 v[27:30], v[17:18], off offset:2032
	;; [unrolled: 1-line block ×3, first 2 shown]
	v_mul_u32_u24_e32 v38, 6, v32
	v_add_u32_e32 v17, 0x5e0, v26
	v_add_u32_e32 v18, 0x1000, v26
	;; [unrolled: 1-line block ×4, first 2 shown]
	ds_read_b32 v53, v19
	ds_read_b32 v54, v20
	ds_read_b32 v10, v10
	ds_read_b32 v55, v26 offset:6552
	ds_read_b32 v56, v26
	ds_read2_b32 v[45:46], v17 offset0:2 offset1:254
	ds_read2_b32 v[47:48], v18 offset0:110 offset1:236
	;; [unrolled: 1-line block ×4, first 2 shown]
	v_lshlrev_b32_e32 v26, 3, v38
	global_load_dwordx4 v[17:20], v26, s[8:9] offset:2032
	global_load_dwordx4 v[37:40], v26, s[8:9] offset:2016
	;; [unrolled: 1-line block ×3, first 2 shown]
	ds_read_b32 v25, v25
	s_waitcnt vmcnt(5)
	v_mul_f32_e32 v26, v8, v21
	s_waitcnt vmcnt(4)
	v_mul_f32_e32 v31, v16, v29
	;; [unrolled: 2-line block ×3, first 2 shown]
	v_mul_f32_e32 v58, v4, v33
	v_mul_f32_e32 v59, v9, v23
	v_mul_f32_e32 v60, v6, v27
	v_mul_f32_e32 v16, v16, v30
	v_mul_f32_e32 v8, v8, v22
	v_mul_f32_e32 v4, v4, v34
	v_mul_f32_e32 v2, v2, v36
	v_mul_f32_e32 v6, v6, v28
	v_mul_f32_e32 v9, v9, v24
	s_waitcnt lgkmcnt(4)
	v_fmac_f32_e32 v26, v45, v22
	v_fma_f32 v22, v55, v29, -v16
	v_fma_f32 v21, v45, v21, -v8
	s_waitcnt lgkmcnt(2)
	v_fma_f32 v4, v49, v33, -v4
	v_fma_f32 v2, v47, v35, -v2
	s_waitcnt lgkmcnt(1)
	v_fma_f32 v6, v51, v27, -v6
	v_fma_f32 v23, v46, v23, -v9
	v_fmac_f32_e32 v31, v55, v30
	v_fmac_f32_e32 v59, v46, v24
	;; [unrolled: 1-line block ×3, first 2 shown]
	v_add_f32_e32 v28, v21, v22
	v_add_f32_e32 v9, v2, v4
	;; [unrolled: 1-line block ×3, first 2 shown]
	v_fmac_f32_e32 v57, v47, v36
	v_fmac_f32_e32 v58, v49, v34
	v_sub_f32_e32 v24, v26, v31
	v_add_f32_e32 v26, v26, v31
	v_add_f32_e32 v30, v59, v60
	v_sub_f32_e32 v35, v9, v29
	v_add_f32_e32 v36, v28, v29
	v_sub_f32_e32 v8, v57, v58
	v_sub_f32_e32 v27, v59, v60
	v_add_f32_e32 v16, v57, v58
	v_add_f32_e32 v47, v26, v30
	v_mul_f32_e32 v35, 0x3d64c772, v35
	v_add_f32_e32 v36, v9, v36
	v_sub_f32_e32 v31, v24, v8
	v_sub_f32_e32 v33, v8, v27
	v_add_f32_e32 v8, v8, v27
	v_sub_f32_e32 v34, v28, v9
	v_sub_f32_e32 v45, v26, v16
	;; [unrolled: 1-line block ×3, first 2 shown]
	v_add_f32_e32 v16, v16, v47
	v_mov_b32_e32 v57, v35
	v_add_f32_e32 v9, v53, v36
	v_sub_f32_e32 v2, v2, v4
	v_sub_f32_e32 v6, v23, v6
	v_add_f32_e32 v49, v24, v8
	v_mul_f32_e32 v51, 0x3f4a47b2, v34
	v_mul_f32_e32 v46, 0x3d64c772, v46
	v_add_f32_e32 v8, v15, v16
	v_fmac_f32_e32 v57, 0x3f4a47b2, v34
	v_mov_b32_e32 v34, v9
	v_sub_f32_e32 v21, v21, v22
	v_sub_f32_e32 v15, v2, v6
	v_mov_b32_e32 v53, v46
	v_fmac_f32_e32 v34, 0xbf955555, v36
	v_sub_f32_e32 v4, v21, v2
	v_mul_f32_e32 v23, 0x3f08b237, v15
	v_add_f32_e32 v2, v2, v6
	v_sub_f32_e32 v6, v6, v21
	v_mul_f32_e32 v33, 0x3f08b237, v33
	v_mul_f32_e32 v55, 0x3f4a47b2, v45
	v_fmac_f32_e32 v53, 0x3f4a47b2, v45
	v_mov_b32_e32 v45, v8
	v_add_f32_e32 v36, v57, v34
	v_mov_b32_e32 v57, v23
	v_add_f32_e32 v2, v21, v2
	v_sub_f32_e32 v24, v27, v24
	v_sub_f32_e32 v26, v30, v26
	v_mul_f32_e32 v21, 0xbf5ff5aa, v6
	v_mov_b32_e32 v47, v33
	v_fmac_f32_e32 v45, 0xbf955555, v16
	v_fmac_f32_e32 v57, 0xbeae86e6, v4
	v_mul_f32_e32 v22, 0xbf5ff5aa, v24
	v_sub_f32_e32 v27, v29, v28
	v_fma_f32 v29, v26, s4, -v55
	v_fma_f32 v4, v4, s5, -v21
	v_fma_f32 v6, v6, s0, -v23
	v_fmac_f32_e32 v47, 0xbeae86e6, v31
	v_fmac_f32_e32 v57, 0xbee1c552, v2
	v_fma_f32 v31, v31, s5, -v22
	v_fma_f32 v22, v27, s4, -v51
	v_add_f32_e32 v30, v29, v45
	v_fmac_f32_e32 v4, 0xbee1c552, v2
	v_fma_f32 v27, v27, s1, -v35
	v_fma_f32 v29, v24, s0, -v33
	v_fmac_f32_e32 v6, 0xbee1c552, v2
	v_fma_f32 v2, v26, s1, -v46
	v_fmac_f32_e32 v31, 0xbee1c552, v49
	v_add_f32_e32 v28, v22, v34
	v_add_f32_e32 v27, v27, v34
	v_fmac_f32_e32 v29, 0xbee1c552, v49
	v_add_f32_e32 v2, v2, v45
	v_add_f32_e32 v53, v53, v45
	v_add_f32_e32 v22, v31, v28
	v_sub_f32_e32 v21, v30, v4
	v_sub_f32_e32 v24, v27, v29
	v_add_f32_e32 v23, v6, v2
	v_add_f32_e32 v27, v29, v27
	v_sub_f32_e32 v26, v2, v6
	v_sub_f32_e32 v29, v28, v31
	v_add_f32_e32 v28, v4, v30
	s_waitcnt vmcnt(0)
	v_mul_f32_e32 v2, v14, v41
	v_mul_f32_e32 v4, v7, v19
	;; [unrolled: 1-line block ×6, first 2 shown]
	v_fmac_f32_e32 v2, v54, v42
	v_fmac_f32_e32 v4, v52, v20
	;; [unrolled: 1-line block ×4, first 2 shown]
	s_waitcnt lgkmcnt(0)
	v_fmac_f32_e32 v45, v25, v44
	v_fmac_f32_e32 v46, v48, v18
	v_mul_f32_e32 v13, v13, v38
	v_mul_f32_e32 v5, v5, v40
	v_sub_f32_e32 v6, v2, v4
	v_sub_f32_e32 v35, v33, v34
	v_fma_f32 v10, v10, v37, -v13
	v_fma_f32 v13, v50, v39, -v5
	v_mul_f32_e32 v3, v3, v18
	v_add_f32_e32 v39, v2, v4
	v_add_f32_e32 v2, v33, v34
	;; [unrolled: 1-line block ×3, first 2 shown]
	v_fma_f32 v17, v48, v17, -v3
	v_mul_f32_e32 v3, v12, v44
	v_sub_f32_e32 v40, v2, v34
	v_mul_f32_e32 v7, v7, v20
	v_mul_f32_e32 v14, v14, v42
	v_fma_f32 v12, v25, v43, -v3
	v_mul_f32_e32 v40, 0x3d64c772, v40
	v_fma_f32 v7, v52, v19, -v7
	v_fma_f32 v14, v54, v41, -v14
	v_add_f32_e32 v5, v13, v10
	v_add_f32_e32 v18, v12, v17
	v_sub_f32_e32 v4, v39, v2
	v_mov_b32_e32 v41, v40
	v_fmac_f32_e32 v47, 0xbee1c552, v49
	v_add_f32_e32 v19, v14, v7
	v_sub_f32_e32 v3, v5, v18
	v_mul_f32_e32 v33, 0x3f4a47b2, v4
	v_fmac_f32_e32 v41, 0x3f4a47b2, v4
	v_add_f32_e32 v4, v39, v34
	v_add_f32_e32 v16, v47, v36
	v_sub_f32_e32 v31, v36, v47
	v_sub_f32_e32 v47, v45, v46
	v_mul_f32_e32 v25, 0x3d64c772, v3
	v_add_f32_e32 v3, v19, v18
	v_add_f32_e32 v4, v2, v4
	v_sub_f32_e32 v49, v35, v47
	v_sub_f32_e32 v20, v19, v5
	v_add_f32_e32 v5, v5, v3
	v_add_f32_e32 v2, v11, v4
	v_sub_f32_e32 v36, v6, v35
	v_mul_f32_e32 v49, 0x3f08b237, v49
	v_add_f32_e32 v35, v35, v47
	v_mov_b32_e32 v38, v25
	v_add_f32_e32 v3, v56, v5
	v_mov_b32_e32 v42, v2
	v_sub_f32_e32 v12, v12, v17
	v_sub_f32_e32 v17, v47, v6
	v_mov_b32_e32 v51, v49
	v_add_f32_e32 v35, v6, v35
	v_mul_f32_e32 v37, 0x3f4a47b2, v20
	v_fmac_f32_e32 v38, 0x3f4a47b2, v20
	v_mov_b32_e32 v20, v3
	v_fmac_f32_e32 v42, 0xbf955555, v4
	v_sub_f32_e32 v4, v13, v10
	v_mul_f32_e32 v6, 0xbf5ff5aa, v17
	v_sub_f32_e32 v18, v18, v19
	v_fmac_f32_e32 v51, 0xbeae86e6, v36
	v_fmac_f32_e32 v20, 0xbf955555, v5
	v_sub_f32_e32 v11, v14, v7
	v_sub_f32_e32 v7, v4, v12
	v_fma_f32 v36, v36, s5, -v6
	v_fma_f32 v6, v18, s4, -v37
	v_sub_f32_e32 v34, v34, v39
	v_sub_f32_e32 v10, v11, v4
	v_mul_f32_e32 v13, 0x3f08b237, v7
	v_add_f32_e32 v4, v4, v12
	v_add_f32_e32 v19, v6, v20
	v_fma_f32 v6, v34, s4, -v33
	v_sub_f32_e32 v12, v12, v11
	v_mov_b32_e32 v43, v13
	v_add_f32_e32 v33, v6, v42
	v_mul_f32_e32 v6, 0xbf5ff5aa, v12
	v_fmac_f32_e32 v43, 0xbeae86e6, v10
	v_fma_f32 v37, v10, s5, -v6
	v_fma_f32 v10, v18, s1, -v25
	v_add_f32_e32 v38, v38, v20
	v_add_f32_e32 v18, v10, v20
	v_fma_f32 v17, v17, s0, -v49
	v_fma_f32 v20, v12, s0, -v13
	v_fma_f32 v10, v34, s1, -v40
	v_mad_u64_u32 v[12:13], s[0:1], s2, v32, 0
	v_add_f32_e32 v14, v11, v4
	v_fmac_f32_e32 v43, 0xbee1c552, v14
	v_fmac_f32_e32 v36, 0xbee1c552, v35
	;; [unrolled: 1-line block ×5, first 2 shown]
	v_add_f32_e32 v14, v10, v42
	v_add_u32_e32 v25, 0xfc, v32
	v_fmac_f32_e32 v51, 0xbee1c552, v35
	v_add_f32_e32 v7, v36, v19
	v_sub_f32_e32 v11, v18, v17
	v_add_f32_e32 v10, v20, v14
	v_add_f32_e32 v18, v17, v18
	v_sub_f32_e32 v17, v14, v20
	v_sub_f32_e32 v20, v19, v36
	v_mad_u64_u32 v[13:14], s[0:1], s3, v32, v[13:14]
	v_mad_u64_u32 v[35:36], s[0:1], s2, v25, 0
	v_sub_f32_e32 v6, v33, v37
	v_add_f32_e32 v19, v37, v33
	v_mov_b32_e32 v14, s13
	v_add_co_u32_e32 v37, vcc, s12, v0
	v_add_f32_e32 v5, v51, v38
	v_sub_f32_e32 v34, v38, v51
	v_addc_co_u32_e32 v38, vcc, v14, v1, vcc
	v_lshlrev_b64 v[0:1], 3, v[12:13]
	v_mov_b32_e32 v12, v36
	v_mad_u64_u32 v[12:13], s[0:1], s3, v25, v[12:13]
	v_add_co_u32_e32 v0, vcc, v37, v0
	v_addc_co_u32_e32 v1, vcc, v38, v1, vcc
	v_mov_b32_e32 v36, v12
	v_add_u32_e32 v12, 0x1f8, v32
	global_store_dwordx2 v[0:1], v[2:3], off
	v_mad_u64_u32 v[2:3], s[0:1], s2, v12, 0
	v_add_f32_e32 v41, v41, v42
	v_sub_f32_e32 v4, v41, v43
	v_mad_u64_u32 v[12:13], s[0:1], s3, v12, v[3:4]
	v_add_u32_e32 v25, 0x2f4, v32
	v_lshlrev_b64 v[0:1], 3, v[35:36]
	v_mad_u64_u32 v[13:14], s[0:1], s2, v25, 0
	v_add_co_u32_e32 v0, vcc, v37, v0
	v_add_f32_e32 v33, v43, v41
	v_addc_co_u32_e32 v1, vcc, v38, v1, vcc
	v_mov_b32_e32 v3, v12
	global_store_dwordx2 v[0:1], v[33:34], off
	v_lshlrev_b64 v[0:1], 3, v[2:3]
	v_mov_b32_e32 v2, v14
	v_mad_u64_u32 v[2:3], s[0:1], s3, v25, v[2:3]
	v_add_u32_e32 v12, 0x3f0, v32
	v_add_co_u32_e32 v0, vcc, v37, v0
	v_mov_b32_e32 v14, v2
	v_mad_u64_u32 v[2:3], s[0:1], s2, v12, 0
	v_addc_co_u32_e32 v1, vcc, v38, v1, vcc
	global_store_dwordx2 v[0:1], v[19:20], off
	v_lshlrev_b64 v[0:1], 3, v[13:14]
	v_mad_u64_u32 v[12:13], s[0:1], s3, v12, v[3:4]
	v_add_u32_e32 v19, 0x4ec, v32
	v_mad_u64_u32 v[13:14], s[0:1], s2, v19, 0
	v_add_co_u32_e32 v0, vcc, v37, v0
	v_addc_co_u32_e32 v1, vcc, v38, v1, vcc
	v_mov_b32_e32 v3, v12
	global_store_dwordx2 v[0:1], v[17:18], off
	v_lshlrev_b64 v[0:1], 3, v[2:3]
	v_mov_b32_e32 v2, v14
	v_mad_u64_u32 v[2:3], s[0:1], s3, v19, v[2:3]
	v_add_co_u32_e32 v0, vcc, v37, v0
	v_addc_co_u32_e32 v1, vcc, v38, v1, vcc
	global_store_dwordx2 v[0:1], v[10:11], off
	v_add_u32_e32 v10, 0x5e8, v32
	v_mov_b32_e32 v14, v2
	v_mad_u64_u32 v[2:3], s[0:1], s2, v10, 0
	v_add_u32_e32 v12, 0x7e, v32
	v_lshrrev_b32_e32 v11, 2, v12
	s_mov_b32 s0, 0x20820821
	v_lshlrev_b64 v[0:1], 3, v[13:14]
	v_mul_hi_u32 v13, v11, s0
	s_movk_i32 s4, 0x5e8
	v_mad_u64_u32 v[10:11], s[0:1], s3, v10, v[3:4]
	v_lshrrev_b32_e32 v3, 3, v13
	v_mad_u32_u24 v13, v3, s4, v12
	v_mad_u64_u32 v[11:12], s[0:1], s2, v13, 0
	v_add_co_u32_e32 v0, vcc, v37, v0
	v_addc_co_u32_e32 v1, vcc, v38, v1, vcc
	v_mov_b32_e32 v3, v10
	global_store_dwordx2 v[0:1], v[6:7], off
	v_lshlrev_b64 v[0:1], 3, v[2:3]
	v_mov_b32_e32 v2, v12
	v_mad_u64_u32 v[2:3], s[0:1], s3, v13, v[2:3]
	v_add_co_u32_e32 v0, vcc, v37, v0
	v_addc_co_u32_e32 v1, vcc, v38, v1, vcc
	global_store_dwordx2 v[0:1], v[4:5], off
	v_add_u32_e32 v4, 0xfc, v13
	v_mov_b32_e32 v12, v2
	v_mad_u64_u32 v[2:3], s[0:1], s2, v4, 0
	v_add_u32_e32 v6, 0x1f8, v13
	v_lshlrev_b64 v[0:1], 3, v[11:12]
	v_mad_u64_u32 v[3:4], s[0:1], s3, v4, v[3:4]
	v_mad_u64_u32 v[4:5], s[0:1], s2, v6, 0
	v_add_co_u32_e32 v0, vcc, v37, v0
	v_addc_co_u32_e32 v1, vcc, v38, v1, vcc
	global_store_dwordx2 v[0:1], v[8:9], off
	v_lshlrev_b64 v[0:1], 3, v[2:3]
	v_mov_b32_e32 v2, v5
	v_mad_u64_u32 v[2:3], s[0:1], s3, v6, v[2:3]
	v_add_co_u32_e32 v0, vcc, v37, v0
	v_add_f32_e32 v30, v57, v53
	v_addc_co_u32_e32 v1, vcc, v38, v1, vcc
	v_mov_b32_e32 v5, v2
	global_store_dwordx2 v[0:1], v[30:31], off
	v_lshlrev_b64 v[0:1], 3, v[4:5]
	v_add_u32_e32 v4, 0x2f4, v13
	v_mad_u64_u32 v[2:3], s[0:1], s2, v4, 0
	v_add_u32_e32 v6, 0x3f0, v13
	v_add_co_u32_e32 v0, vcc, v37, v0
	v_mad_u64_u32 v[3:4], s[0:1], s3, v4, v[3:4]
	v_mad_u64_u32 v[4:5], s[0:1], s2, v6, 0
	v_addc_co_u32_e32 v1, vcc, v38, v1, vcc
	global_store_dwordx2 v[0:1], v[28:29], off
	v_lshlrev_b64 v[0:1], 3, v[2:3]
	v_mov_b32_e32 v2, v5
	v_mad_u64_u32 v[2:3], s[0:1], s3, v6, v[2:3]
	v_add_co_u32_e32 v0, vcc, v37, v0
	v_addc_co_u32_e32 v1, vcc, v38, v1, vcc
	v_mov_b32_e32 v5, v2
	global_store_dwordx2 v[0:1], v[26:27], off
	v_lshlrev_b64 v[0:1], 3, v[4:5]
	v_add_u32_e32 v4, 0x4ec, v13
	v_mad_u64_u32 v[2:3], s[0:1], s2, v4, 0
	v_add_u32_e32 v6, 0x5e8, v13
	v_add_co_u32_e32 v0, vcc, v37, v0
	v_mad_u64_u32 v[3:4], s[0:1], s3, v4, v[3:4]
	v_mad_u64_u32 v[4:5], s[0:1], s2, v6, 0
	v_addc_co_u32_e32 v1, vcc, v38, v1, vcc
	global_store_dwordx2 v[0:1], v[23:24], off
	v_lshlrev_b64 v[0:1], 3, v[2:3]
	v_mov_b32_e32 v2, v5
	v_mad_u64_u32 v[2:3], s[0:1], s3, v6, v[2:3]
	v_add_co_u32_e32 v0, vcc, v37, v0
	v_addc_co_u32_e32 v1, vcc, v38, v1, vcc
	v_mov_b32_e32 v5, v2
	global_store_dwordx2 v[0:1], v[21:22], off
	v_lshlrev_b64 v[0:1], 3, v[4:5]
	v_sub_f32_e32 v15, v53, v57
	v_add_co_u32_e32 v0, vcc, v37, v0
	v_addc_co_u32_e32 v1, vcc, v38, v1, vcc
	global_store_dwordx2 v[0:1], v[15:16], off
.LBB0_31:
	s_endpgm
	.section	.rodata,"a",@progbits
	.p2align	6, 0x0
	.amdhsa_kernel fft_rtc_back_len1764_factors_2_2_3_3_7_7_wgs_126_tpt_126_halfLds_sp_ip_CI_sbrr_dirReg
		.amdhsa_group_segment_fixed_size 0
		.amdhsa_private_segment_fixed_size 0
		.amdhsa_kernarg_size 88
		.amdhsa_user_sgpr_count 6
		.amdhsa_user_sgpr_private_segment_buffer 1
		.amdhsa_user_sgpr_dispatch_ptr 0
		.amdhsa_user_sgpr_queue_ptr 0
		.amdhsa_user_sgpr_kernarg_segment_ptr 1
		.amdhsa_user_sgpr_dispatch_id 0
		.amdhsa_user_sgpr_flat_scratch_init 0
		.amdhsa_user_sgpr_private_segment_size 0
		.amdhsa_uses_dynamic_stack 0
		.amdhsa_system_sgpr_private_segment_wavefront_offset 0
		.amdhsa_system_sgpr_workgroup_id_x 1
		.amdhsa_system_sgpr_workgroup_id_y 0
		.amdhsa_system_sgpr_workgroup_id_z 0
		.amdhsa_system_sgpr_workgroup_info 0
		.amdhsa_system_vgpr_workitem_id 0
		.amdhsa_next_free_vgpr 80
		.amdhsa_next_free_sgpr 24
		.amdhsa_reserve_vcc 1
		.amdhsa_reserve_flat_scratch 0
		.amdhsa_float_round_mode_32 0
		.amdhsa_float_round_mode_16_64 0
		.amdhsa_float_denorm_mode_32 3
		.amdhsa_float_denorm_mode_16_64 3
		.amdhsa_dx10_clamp 1
		.amdhsa_ieee_mode 1
		.amdhsa_fp16_overflow 0
		.amdhsa_exception_fp_ieee_invalid_op 0
		.amdhsa_exception_fp_denorm_src 0
		.amdhsa_exception_fp_ieee_div_zero 0
		.amdhsa_exception_fp_ieee_overflow 0
		.amdhsa_exception_fp_ieee_underflow 0
		.amdhsa_exception_fp_ieee_inexact 0
		.amdhsa_exception_int_div_zero 0
	.end_amdhsa_kernel
	.text
.Lfunc_end0:
	.size	fft_rtc_back_len1764_factors_2_2_3_3_7_7_wgs_126_tpt_126_halfLds_sp_ip_CI_sbrr_dirReg, .Lfunc_end0-fft_rtc_back_len1764_factors_2_2_3_3_7_7_wgs_126_tpt_126_halfLds_sp_ip_CI_sbrr_dirReg
                                        ; -- End function
	.section	.AMDGPU.csdata,"",@progbits
; Kernel info:
; codeLenInByte = 10008
; NumSgprs: 28
; NumVgprs: 80
; ScratchSize: 0
; MemoryBound: 0
; FloatMode: 240
; IeeeMode: 1
; LDSByteSize: 0 bytes/workgroup (compile time only)
; SGPRBlocks: 3
; VGPRBlocks: 19
; NumSGPRsForWavesPerEU: 28
; NumVGPRsForWavesPerEU: 80
; Occupancy: 3
; WaveLimiterHint : 1
; COMPUTE_PGM_RSRC2:SCRATCH_EN: 0
; COMPUTE_PGM_RSRC2:USER_SGPR: 6
; COMPUTE_PGM_RSRC2:TRAP_HANDLER: 0
; COMPUTE_PGM_RSRC2:TGID_X_EN: 1
; COMPUTE_PGM_RSRC2:TGID_Y_EN: 0
; COMPUTE_PGM_RSRC2:TGID_Z_EN: 0
; COMPUTE_PGM_RSRC2:TIDIG_COMP_CNT: 0
	.type	__hip_cuid_38e6b9042655226f,@object ; @__hip_cuid_38e6b9042655226f
	.section	.bss,"aw",@nobits
	.globl	__hip_cuid_38e6b9042655226f
__hip_cuid_38e6b9042655226f:
	.byte	0                               ; 0x0
	.size	__hip_cuid_38e6b9042655226f, 1

	.ident	"AMD clang version 19.0.0git (https://github.com/RadeonOpenCompute/llvm-project roc-6.4.0 25133 c7fe45cf4b819c5991fe208aaa96edf142730f1d)"
	.section	".note.GNU-stack","",@progbits
	.addrsig
	.addrsig_sym __hip_cuid_38e6b9042655226f
	.amdgpu_metadata
---
amdhsa.kernels:
  - .args:
      - .actual_access:  read_only
        .address_space:  global
        .offset:         0
        .size:           8
        .value_kind:     global_buffer
      - .offset:         8
        .size:           8
        .value_kind:     by_value
      - .actual_access:  read_only
        .address_space:  global
        .offset:         16
        .size:           8
        .value_kind:     global_buffer
      - .actual_access:  read_only
        .address_space:  global
        .offset:         24
        .size:           8
        .value_kind:     global_buffer
      - .offset:         32
        .size:           8
        .value_kind:     by_value
      - .actual_access:  read_only
        .address_space:  global
        .offset:         40
        .size:           8
        .value_kind:     global_buffer
      - .actual_access:  read_only
        .address_space:  global
        .offset:         48
        .size:           8
        .value_kind:     global_buffer
      - .offset:         56
        .size:           4
        .value_kind:     by_value
      - .actual_access:  read_only
        .address_space:  global
        .offset:         64
        .size:           8
        .value_kind:     global_buffer
      - .actual_access:  read_only
        .address_space:  global
        .offset:         72
        .size:           8
        .value_kind:     global_buffer
      - .address_space:  global
        .offset:         80
        .size:           8
        .value_kind:     global_buffer
    .group_segment_fixed_size: 0
    .kernarg_segment_align: 8
    .kernarg_segment_size: 88
    .language:       OpenCL C
    .language_version:
      - 2
      - 0
    .max_flat_workgroup_size: 126
    .name:           fft_rtc_back_len1764_factors_2_2_3_3_7_7_wgs_126_tpt_126_halfLds_sp_ip_CI_sbrr_dirReg
    .private_segment_fixed_size: 0
    .sgpr_count:     28
    .sgpr_spill_count: 0
    .symbol:         fft_rtc_back_len1764_factors_2_2_3_3_7_7_wgs_126_tpt_126_halfLds_sp_ip_CI_sbrr_dirReg.kd
    .uniform_work_group_size: 1
    .uses_dynamic_stack: false
    .vgpr_count:     80
    .vgpr_spill_count: 0
    .wavefront_size: 64
amdhsa.target:   amdgcn-amd-amdhsa--gfx906
amdhsa.version:
  - 1
  - 2
...

	.end_amdgpu_metadata
